;; amdgpu-corpus repo=ROCm/rocFFT kind=compiled arch=gfx1030 opt=O3
	.text
	.amdgcn_target "amdgcn-amd-amdhsa--gfx1030"
	.amdhsa_code_object_version 6
	.protected	fft_rtc_back_len3072_factors_6_4_4_4_4_2_wgs_256_tpt_256_halfLds_sp_op_CI_CI_unitstride_sbrr_dirReg ; -- Begin function fft_rtc_back_len3072_factors_6_4_4_4_4_2_wgs_256_tpt_256_halfLds_sp_op_CI_CI_unitstride_sbrr_dirReg
	.globl	fft_rtc_back_len3072_factors_6_4_4_4_4_2_wgs_256_tpt_256_halfLds_sp_op_CI_CI_unitstride_sbrr_dirReg
	.p2align	8
	.type	fft_rtc_back_len3072_factors_6_4_4_4_4_2_wgs_256_tpt_256_halfLds_sp_op_CI_CI_unitstride_sbrr_dirReg,@function
fft_rtc_back_len3072_factors_6_4_4_4_4_2_wgs_256_tpt_256_halfLds_sp_op_CI_CI_unitstride_sbrr_dirReg: ; @fft_rtc_back_len3072_factors_6_4_4_4_4_2_wgs_256_tpt_256_halfLds_sp_op_CI_CI_unitstride_sbrr_dirReg
; %bb.0:
	s_clause 0x2
	s_load_dwordx4 s[12:15], s[4:5], 0x0
	s_load_dwordx4 s[8:11], s[4:5], 0x58
	;; [unrolled: 1-line block ×3, first 2 shown]
	v_mov_b32_e32 v6, 0
	v_mov_b32_e32 v13, 0
	v_mov_b32_e32 v8, s6
	v_mov_b32_e32 v14, 0
	v_mov_b32_e32 v9, v6
	s_waitcnt lgkmcnt(0)
	v_cmp_lt_u64_e64 s0, s[14:15], 2
	s_and_b32 vcc_lo, exec_lo, s0
	s_cbranch_vccnz .LBB0_8
; %bb.1:
	s_load_dwordx2 s[0:1], s[4:5], 0x10
	v_mov_b32_e32 v13, 0
	v_mov_b32_e32 v14, 0
	s_add_u32 s2, s18, 8
	s_addc_u32 s3, s19, 0
	v_mov_b32_e32 v2, v13
	s_add_u32 s6, s16, 8
	v_mov_b32_e32 v3, v14
	s_addc_u32 s7, s17, 0
	s_mov_b64 s[22:23], 1
	s_waitcnt lgkmcnt(0)
	s_add_u32 s20, s0, 8
	s_addc_u32 s21, s1, 0
.LBB0_2:                                ; =>This Inner Loop Header: Depth=1
	s_load_dwordx2 s[24:25], s[20:21], 0x0
                                        ; implicit-def: $vgpr4_vgpr5
	s_mov_b32 s0, exec_lo
	s_waitcnt lgkmcnt(0)
	v_or_b32_e32 v7, s25, v9
	v_cmpx_ne_u64_e32 0, v[6:7]
	s_xor_b32 s1, exec_lo, s0
	s_cbranch_execz .LBB0_4
; %bb.3:                                ;   in Loop: Header=BB0_2 Depth=1
	v_cvt_f32_u32_e32 v1, s24
	v_cvt_f32_u32_e32 v4, s25
	s_sub_u32 s0, 0, s24
	s_subb_u32 s26, 0, s25
	v_fmac_f32_e32 v1, 0x4f800000, v4
	v_rcp_f32_e32 v1, v1
	v_mul_f32_e32 v1, 0x5f7ffffc, v1
	v_mul_f32_e32 v4, 0x2f800000, v1
	v_trunc_f32_e32 v4, v4
	v_fmac_f32_e32 v1, 0xcf800000, v4
	v_cvt_u32_f32_e32 v4, v4
	v_cvt_u32_f32_e32 v1, v1
	v_mul_lo_u32 v5, s0, v4
	v_mul_hi_u32 v7, s0, v1
	v_mul_lo_u32 v10, s26, v1
	v_add_nc_u32_e32 v5, v7, v5
	v_mul_lo_u32 v7, s0, v1
	v_add_nc_u32_e32 v5, v5, v10
	v_mul_hi_u32 v10, v1, v7
	v_mul_lo_u32 v11, v1, v5
	v_mul_hi_u32 v12, v1, v5
	v_mul_hi_u32 v15, v4, v7
	v_mul_lo_u32 v7, v4, v7
	v_mul_hi_u32 v16, v4, v5
	v_mul_lo_u32 v5, v4, v5
	v_add_co_u32 v10, vcc_lo, v10, v11
	v_add_co_ci_u32_e32 v11, vcc_lo, 0, v12, vcc_lo
	v_add_co_u32 v7, vcc_lo, v10, v7
	v_add_co_ci_u32_e32 v7, vcc_lo, v11, v15, vcc_lo
	v_add_co_ci_u32_e32 v10, vcc_lo, 0, v16, vcc_lo
	v_add_co_u32 v5, vcc_lo, v7, v5
	v_add_co_ci_u32_e32 v7, vcc_lo, 0, v10, vcc_lo
	v_add_co_u32 v1, vcc_lo, v1, v5
	v_add_co_ci_u32_e32 v4, vcc_lo, v4, v7, vcc_lo
	v_mul_hi_u32 v5, s0, v1
	v_mul_lo_u32 v10, s26, v1
	v_mul_lo_u32 v7, s0, v4
	v_add_nc_u32_e32 v5, v5, v7
	v_mul_lo_u32 v7, s0, v1
	v_add_nc_u32_e32 v5, v5, v10
	v_mul_hi_u32 v10, v1, v7
	v_mul_lo_u32 v11, v1, v5
	v_mul_hi_u32 v12, v1, v5
	v_mul_hi_u32 v15, v4, v7
	v_mul_lo_u32 v7, v4, v7
	v_mul_hi_u32 v16, v4, v5
	v_mul_lo_u32 v5, v4, v5
	v_add_co_u32 v10, vcc_lo, v10, v11
	v_add_co_ci_u32_e32 v11, vcc_lo, 0, v12, vcc_lo
	v_add_co_u32 v7, vcc_lo, v10, v7
	v_add_co_ci_u32_e32 v7, vcc_lo, v11, v15, vcc_lo
	v_add_co_ci_u32_e32 v10, vcc_lo, 0, v16, vcc_lo
	v_add_co_u32 v5, vcc_lo, v7, v5
	v_add_co_ci_u32_e32 v7, vcc_lo, 0, v10, vcc_lo
	v_add_co_u32 v1, vcc_lo, v1, v5
	v_add_co_ci_u32_e32 v7, vcc_lo, v4, v7, vcc_lo
	v_mul_hi_u32 v12, v8, v1
	v_mad_u64_u32 v[10:11], null, v9, v1, 0
	v_mad_u64_u32 v[4:5], null, v8, v7, 0
	;; [unrolled: 1-line block ×3, first 2 shown]
	v_add_co_u32 v1, vcc_lo, v12, v4
	v_add_co_ci_u32_e32 v4, vcc_lo, 0, v5, vcc_lo
	v_add_co_u32 v1, vcc_lo, v1, v10
	v_add_co_ci_u32_e32 v1, vcc_lo, v4, v11, vcc_lo
	v_add_co_ci_u32_e32 v4, vcc_lo, 0, v16, vcc_lo
	v_add_co_u32 v1, vcc_lo, v1, v15
	v_add_co_ci_u32_e32 v7, vcc_lo, 0, v4, vcc_lo
	v_mul_lo_u32 v10, s25, v1
	v_mad_u64_u32 v[4:5], null, s24, v1, 0
	v_mul_lo_u32 v11, s24, v7
	v_sub_co_u32 v4, vcc_lo, v8, v4
	v_add3_u32 v5, v5, v11, v10
	v_sub_nc_u32_e32 v10, v9, v5
	v_subrev_co_ci_u32_e64 v10, s0, s25, v10, vcc_lo
	v_add_co_u32 v11, s0, v1, 2
	v_add_co_ci_u32_e64 v12, s0, 0, v7, s0
	v_sub_co_u32 v15, s0, v4, s24
	v_sub_co_ci_u32_e32 v5, vcc_lo, v9, v5, vcc_lo
	v_subrev_co_ci_u32_e64 v10, s0, 0, v10, s0
	v_cmp_le_u32_e32 vcc_lo, s24, v15
	v_cmp_eq_u32_e64 s0, s25, v5
	v_cndmask_b32_e64 v15, 0, -1, vcc_lo
	v_cmp_le_u32_e32 vcc_lo, s25, v10
	v_cndmask_b32_e64 v16, 0, -1, vcc_lo
	v_cmp_le_u32_e32 vcc_lo, s24, v4
	;; [unrolled: 2-line block ×3, first 2 shown]
	v_cndmask_b32_e64 v17, 0, -1, vcc_lo
	v_cmp_eq_u32_e32 vcc_lo, s25, v10
	v_cndmask_b32_e64 v4, v17, v4, s0
	v_cndmask_b32_e32 v10, v16, v15, vcc_lo
	v_add_co_u32 v15, vcc_lo, v1, 1
	v_add_co_ci_u32_e32 v16, vcc_lo, 0, v7, vcc_lo
	v_cmp_ne_u32_e32 vcc_lo, 0, v10
	v_cndmask_b32_e32 v5, v16, v12, vcc_lo
	v_cndmask_b32_e32 v10, v15, v11, vcc_lo
	v_cmp_ne_u32_e32 vcc_lo, 0, v4
	v_cndmask_b32_e32 v5, v7, v5, vcc_lo
	v_cndmask_b32_e32 v4, v1, v10, vcc_lo
.LBB0_4:                                ;   in Loop: Header=BB0_2 Depth=1
	s_andn2_saveexec_b32 s0, s1
	s_cbranch_execz .LBB0_6
; %bb.5:                                ;   in Loop: Header=BB0_2 Depth=1
	v_cvt_f32_u32_e32 v1, s24
	s_sub_i32 s1, 0, s24
	v_rcp_iflag_f32_e32 v1, v1
	v_mul_f32_e32 v1, 0x4f7ffffe, v1
	v_cvt_u32_f32_e32 v1, v1
	v_mul_lo_u32 v4, s1, v1
	v_mul_hi_u32 v4, v1, v4
	v_add_nc_u32_e32 v1, v1, v4
	v_mul_hi_u32 v1, v8, v1
	v_mul_lo_u32 v4, v1, s24
	v_add_nc_u32_e32 v5, 1, v1
	v_sub_nc_u32_e32 v4, v8, v4
	v_subrev_nc_u32_e32 v7, s24, v4
	v_cmp_le_u32_e32 vcc_lo, s24, v4
	v_cndmask_b32_e32 v4, v4, v7, vcc_lo
	v_cndmask_b32_e32 v1, v1, v5, vcc_lo
	v_cmp_le_u32_e32 vcc_lo, s24, v4
	v_add_nc_u32_e32 v5, 1, v1
	v_cndmask_b32_e32 v4, v1, v5, vcc_lo
	v_mov_b32_e32 v5, v6
.LBB0_6:                                ;   in Loop: Header=BB0_2 Depth=1
	s_or_b32 exec_lo, exec_lo, s0
	v_mul_lo_u32 v1, v5, s24
	v_mul_lo_u32 v7, v4, s25
	s_load_dwordx2 s[0:1], s[6:7], 0x0
	v_mad_u64_u32 v[10:11], null, v4, s24, 0
	s_load_dwordx2 s[24:25], s[2:3], 0x0
	s_add_u32 s22, s22, 1
	s_addc_u32 s23, s23, 0
	s_add_u32 s2, s2, 8
	s_addc_u32 s3, s3, 0
	s_add_u32 s6, s6, 8
	v_add3_u32 v1, v11, v7, v1
	v_sub_co_u32 v7, vcc_lo, v8, v10
	s_addc_u32 s7, s7, 0
	s_add_u32 s20, s20, 8
	v_sub_co_ci_u32_e32 v1, vcc_lo, v9, v1, vcc_lo
	s_addc_u32 s21, s21, 0
	s_waitcnt lgkmcnt(0)
	v_mul_lo_u32 v8, s0, v1
	v_mul_lo_u32 v9, s1, v7
	v_mad_u64_u32 v[13:14], null, s0, v7, v[13:14]
	v_mul_lo_u32 v1, s24, v1
	v_mul_lo_u32 v10, s25, v7
	v_mad_u64_u32 v[2:3], null, s24, v7, v[2:3]
	v_cmp_ge_u64_e64 s0, s[22:23], s[14:15]
	v_add3_u32 v14, v9, v14, v8
	v_add3_u32 v3, v10, v3, v1
	s_and_b32 vcc_lo, exec_lo, s0
	s_cbranch_vccnz .LBB0_9
; %bb.7:                                ;   in Loop: Header=BB0_2 Depth=1
	v_mov_b32_e32 v9, v5
	v_mov_b32_e32 v8, v4
	s_branch .LBB0_2
.LBB0_8:
	v_mov_b32_e32 v2, v13
	v_mov_b32_e32 v4, v8
	;; [unrolled: 1-line block ×4, first 2 shown]
.LBB0_9:
	s_load_dwordx2 s[0:1], s[4:5], 0x28
	s_lshl_b64 s[4:5], s[14:15], 3
	v_or_b32_e32 v6, 0x100, v0
	v_or_b32_e32 v8, 0x300, v0
	;; [unrolled: 1-line block ×5, first 2 shown]
	s_add_u32 s2, s18, s4
	s_addc_u32 s3, s19, s5
	s_waitcnt lgkmcnt(0)
	v_cmp_gt_u64_e32 vcc_lo, s[0:1], v[4:5]
	v_cmp_le_u64_e64 s0, s[0:1], v[4:5]
	s_and_saveexec_b32 s1, s0
	s_xor_b32 s0, exec_lo, s1
; %bb.10:
	v_or_b32_e32 v6, 0x100, v0
	v_or_b32_e32 v8, 0x300, v0
	;; [unrolled: 1-line block ×5, first 2 shown]
                                        ; implicit-def: $vgpr13_vgpr14
; %bb.11:
	s_or_saveexec_b32 s1, s0
                                        ; implicit-def: $vgpr19
                                        ; implicit-def: $vgpr25
                                        ; implicit-def: $vgpr33
                                        ; implicit-def: $vgpr37
                                        ; implicit-def: $vgpr35
                                        ; implicit-def: $vgpr15
                                        ; implicit-def: $vgpr29
                                        ; implicit-def: $vgpr23
                                        ; implicit-def: $vgpr27
                                        ; implicit-def: $vgpr21
                                        ; implicit-def: $vgpr17
                                        ; implicit-def: $vgpr31
	s_xor_b32 exec_lo, exec_lo, s1
	s_cbranch_execz .LBB0_13
; %bb.12:
	s_add_u32 s4, s16, s4
	s_addc_u32 s5, s17, s5
	v_lshlrev_b64 v[13:14], 3, v[13:14]
	s_load_dwordx2 s[4:5], s[4:5], 0x0
	v_lshlrev_b32_e32 v11, 3, v10
	v_lshlrev_b32_e32 v17, 3, v6
	v_lshlrev_b32_e32 v34, 3, v8
	s_waitcnt lgkmcnt(0)
	v_mul_lo_u32 v1, s5, v4
	v_mul_lo_u32 v9, s4, v5
	v_mad_u64_u32 v[15:16], null, s4, v4, 0
	v_add3_u32 v16, v16, v9, v1
	v_lshlrev_b32_e32 v1, 3, v0
	v_lshlrev_b32_e32 v9, 3, v7
	v_lshlrev_b64 v[15:16], 3, v[15:16]
	v_or_b32_e32 v18, 0x3000, v1
	v_or_b32_e32 v19, 0x4000, v1
	;; [unrolled: 1-line block ×3, first 2 shown]
	v_add_co_u32 v15, s0, s8, v15
	v_add_co_ci_u32_e64 v16, s0, s9, v16, s0
	v_add_co_u32 v35, s0, v15, v13
	v_add_co_ci_u32_e64 v36, s0, v16, v14, s0
	;; [unrolled: 2-line block ×8, first 2 shown]
	v_add_co_u32 v38, s0, v35, v17
	v_lshlrev_b32_e32 v9, 3, v12
	v_add_co_ci_u32_e64 v39, s0, 0, v36, s0
	s_clause 0x3
	global_load_dwordx2 v[18:19], v[13:14], off
	global_load_dwordx2 v[24:25], v[15:16], off
	;; [unrolled: 1-line block ×4, first 2 shown]
	v_add_co_u32 v16, s0, v35, v34
	v_or_b32_e32 v11, 0x3800, v1
	v_add_co_ci_u32_e64 v17, s0, 0, v36, s0
	v_add_co_u32 v20, s0, v35, v9
	v_or_b32_e32 v9, 0x4800, v1
	v_add_co_ci_u32_e64 v21, s0, 0, v36, s0
	;; [unrolled: 3-line block ×3, first 2 shown]
	v_add_co_u32 v40, s0, v35, v9
	v_add_co_ci_u32_e64 v41, s0, 0, v36, s0
	v_add_co_u32 v42, s0, v35, v1
	v_add_co_ci_u32_e64 v43, s0, 0, v36, s0
	s_clause 0x7
	global_load_dwordx2 v[36:37], v[26:27], off
	global_load_dwordx2 v[34:35], v[28:29], off
	;; [unrolled: 1-line block ×8, first 2 shown]
.LBB0_13:
	s_or_b32 exec_lo, exec_lo, s1
	s_waitcnt vmcnt(7)
	v_add_f32_e32 v1, v32, v36
	v_add_f32_e32 v9, v18, v32
	v_sub_f32_e32 v11, v33, v37
	v_add_f32_e32 v13, v33, v37
	v_sub_f32_e32 v32, v32, v36
	v_fmac_f32_e32 v18, -0.5, v1
	v_add_f32_e32 v1, v19, v33
	s_waitcnt vmcnt(6)
	v_add_f32_e32 v33, v34, v30
	v_fmac_f32_e32 v19, -0.5, v13
	v_add_f32_e32 v9, v9, v36
	v_fmamk_f32 v13, v11, 0xbf5db3d7, v18
	v_fmac_f32_e32 v18, 0x3f5db3d7, v11
	v_add_f32_e32 v11, v35, v31
	v_add_f32_e32 v36, v25, v31
	v_sub_f32_e32 v31, v31, v35
	v_fmamk_f32 v38, v32, 0x3f5db3d7, v19
	v_fmac_f32_e32 v19, 0xbf5db3d7, v32
	v_fmac_f32_e32 v25, -0.5, v11
	v_sub_f32_e32 v11, v30, v34
	v_add_f32_e32 v30, v24, v30
	v_fmac_f32_e32 v24, -0.5, v33
	v_add_f32_e32 v1, v1, v37
	v_add_f32_e32 v35, v35, v36
	v_fmamk_f32 v32, v11, 0x3f5db3d7, v25
	v_fmac_f32_e32 v25, 0xbf5db3d7, v11
	v_add_f32_e32 v11, v34, v30
	v_fmamk_f32 v30, v31, 0xbf5db3d7, v24
	v_fmac_f32_e32 v24, 0x3f5db3d7, v31
	v_mul_f32_e32 v37, 0xbf5db3d7, v32
	v_mul_f32_e32 v39, 0xbf5db3d7, v25
	v_mul_f32_e32 v41, -0.5, v25
	v_mul_f32_e32 v40, 0x3f5db3d7, v30
	v_sub_f32_e32 v25, v9, v11
	v_fmac_f32_e32 v37, 0.5, v30
	v_fmac_f32_e32 v39, -0.5, v24
	v_add_f32_e32 v30, v9, v11
	v_fmac_f32_e32 v40, 0.5, v32
	v_add_f32_e32 v32, v1, v35
	v_sub_f32_e32 v35, v1, v35
	s_waitcnt vmcnt(1)
	v_add_f32_e32 v1, v28, v26
	v_add_f32_e32 v31, v13, v37
	v_sub_f32_e32 v36, v13, v37
	v_add_f32_e32 v9, v14, v28
	v_add_f32_e32 v13, v15, v29
	v_fmac_f32_e32 v14, -0.5, v1
	v_sub_f32_e32 v1, v29, v27
	v_fmac_f32_e32 v41, 0x3f5db3d7, v24
	v_add_f32_e32 v24, v18, v39
	v_add_f32_e32 v33, v38, v40
	v_sub_f32_e32 v37, v18, v39
	v_sub_f32_e32 v18, v38, v40
	v_add_f32_e32 v11, v29, v27
	v_fmamk_f32 v29, v1, 0xbf5db3d7, v14
	v_fmac_f32_e32 v14, 0x3f5db3d7, v1
	s_waitcnt vmcnt(0)
	v_add_f32_e32 v1, v23, v21
	v_add_f32_e32 v38, v13, v27
	;; [unrolled: 1-line block ×4, first 2 shown]
	v_fmac_f32_e32 v15, -0.5, v11
	v_sub_f32_e32 v11, v28, v26
	v_add_f32_e32 v26, v23, v17
	v_fmac_f32_e32 v17, -0.5, v1
	v_sub_f32_e32 v1, v22, v20
	v_add_f32_e32 v22, v22, v16
	v_fmac_f32_e32 v16, -0.5, v13
	v_sub_f32_e32 v13, v23, v21
	v_fmamk_f32 v39, v11, 0x3f5db3d7, v15
	v_fmac_f32_e32 v15, 0xbf5db3d7, v11
	v_fmamk_f32 v11, v1, 0x3f5db3d7, v17
	v_fmac_f32_e32 v17, 0xbf5db3d7, v1
	v_add_f32_e32 v1, v20, v22
	v_fmamk_f32 v20, v13, 0xbf5db3d7, v16
	v_add_f32_e32 v34, v19, v41
	v_sub_f32_e32 v19, v19, v41
	v_fmac_f32_e32 v16, 0x3f5db3d7, v13
	v_mul_f32_e32 v13, 0xbf5db3d7, v11
	v_mul_f32_e32 v41, 0x3f5db3d7, v20
	;; [unrolled: 1-line block ×3, first 2 shown]
	v_add_f32_e32 v21, v21, v26
	v_mul_f32_e32 v42, -0.5, v17
	v_fmac_f32_e32 v13, 0.5, v20
	v_fmac_f32_e32 v41, 0.5, v11
	v_mul_u32_u24_e32 v11, 6, v0
	v_fmac_f32_e32 v40, -0.5, v16
	v_add_f32_e32 v22, v9, v1
	v_sub_f32_e32 v17, v9, v1
	v_mul_i32_i24_e32 v1, 6, v6
	v_lshl_add_u32 v11, v11, 2, 0
	v_fmac_f32_e32 v42, 0x3f5db3d7, v16
	v_add_f32_e32 v23, v29, v13
	v_add_f32_e32 v16, v14, v40
	;; [unrolled: 1-line block ×3, first 2 shown]
	v_sub_f32_e32 v13, v29, v13
	v_sub_f32_e32 v29, v38, v21
	v_lshl_add_u32 v21, v1, 2, 0
	v_sub_f32_e32 v14, v14, v40
	s_load_dwordx2 s[2:3], s[2:3], 0x0
	ds_write2_b64 v11, v[30:31], v[24:25] offset1:1
	ds_write_b64 v11, v[36:37] offset:16
	ds_write2_b64 v21, v[22:23], v[16:17] offset1:1
	ds_write_b64 v21, v[13:14] offset:16
	v_mul_lo_u16 v14, 0xab, v0
	v_mad_i32_i24 v22, 0xffffffec, v0, v11
	v_lshl_add_u32 v23, v8, 2, 0
	v_add_f32_e32 v27, v39, v41
	v_add_f32_e32 v28, v15, v42
	v_lshrrev_b16 v44, 10, v14
	v_mad_i32_i24 v1, 0xffffffec, v6, v21
	v_lshl_add_u32 v24, v7, 2, 0
	v_sub_f32_e32 v38, v39, v41
	v_sub_f32_e32 v39, v15, v42
	v_mul_lo_u16 v9, v44, 6
	s_waitcnt lgkmcnt(0)
	s_barrier
	buffer_gl0_inv
	ds_read2st64_b32 v[30:31], v22 offset1:16
	v_sub_nc_u16 v47, v0, v9
	v_mov_b32_e32 v9, 3
	ds_read2st64_b32 v[36:37], v22 offset0:20 offset1:24
	ds_read2st64_b32 v[40:41], v22 offset0:36 offset1:40
	ds_read2st64_b32 v[42:43], v22 offset0:28 offset1:32
	ds_read_b32 v45, v1
	ds_read_b32 v46, v24
	;; [unrolled: 1-line block ×3, first 2 shown]
	ds_read_b32 v49, v22 offset:11264
	s_waitcnt lgkmcnt(0)
	v_mul_u32_u24_sdwa v13, v47, v9 dst_sel:DWORD dst_unused:UNUSED_PAD src0_sel:BYTE_0 src1_sel:DWORD
	s_barrier
	buffer_gl0_inv
	ds_write2_b64 v11, v[32:33], v[34:35] offset1:1
	ds_write_b64 v11, v[18:19] offset:16
	ds_write2_b64 v21, v[26:27], v[28:29] offset1:1
	ds_write_b64 v21, v[38:39] offset:16
	v_lshlrev_b32_e32 v29, 3, v13
	s_waitcnt lgkmcnt(0)
	s_barrier
	buffer_gl0_inv
	v_mov_b32_e32 v13, 0xaaab
	global_load_dwordx4 v[15:18], v29, s[12:13]
	ds_read_b32 v32, v23
	v_cmp_gt_u32_e64 s0, 0x180, v6
	v_mul_u32_u24_sdwa v11, v7, v13 dst_sel:DWORD dst_unused:UNUSED_PAD src0_sel:WORD_0 src1_sel:DWORD
	v_mul_u32_u24_sdwa v13, v6, v13 dst_sel:DWORD dst_unused:UNUSED_PAD src0_sel:WORD_0 src1_sel:DWORD
	v_lshrrev_b32_e32 v38, 18, v11
	v_lshrrev_b32_e32 v51, 18, v13
	v_mul_lo_u16 v19, v38, 6
	v_mul_lo_u16 v33, v51, 6
	v_sub_nc_u16 v39, v7, v19
	v_sub_nc_u16 v52, v6, v33
	v_mul_lo_u16 v19, v39, 3
	v_mul_lo_u16 v33, v52, 3
	v_lshlrev_b32_sdwa v50, v9, v19 dst_sel:DWORD dst_unused:UNUSED_PAD src0_sel:DWORD src1_sel:WORD_0
	ds_read2st64_b32 v[19:20], v22 offset0:20 offset1:24
	v_lshlrev_b32_sdwa v57, v9, v33 dst_sel:DWORD dst_unused:UNUSED_PAD src0_sel:DWORD src1_sel:WORD_0
	global_load_dwordx4 v[25:28], v50, s[12:13]
	ds_read_b32 v53, v24
	ds_read_b32 v54, v22 offset:11264
	ds_read2st64_b32 v[34:35], v22 offset0:28 offset1:32
	s_waitcnt vmcnt(1) lgkmcnt(4)
	v_mul_f32_e32 v55, v32, v16
	v_mul_f32_e32 v16, v48, v16
	s_waitcnt lgkmcnt(3)
	v_mul_f32_e32 v56, v20, v18
	v_mul_f32_e32 v18, v37, v18
	v_fmac_f32_e32 v55, v48, v15
	v_fma_f32 v48, v32, v15, -v16
	v_fmac_f32_e32 v56, v37, v17
	v_fma_f32 v37, v20, v17, -v18
	s_clause 0x1
	global_load_dwordx4 v[15:18], v57, s[12:13]
	global_load_dwordx2 v[32:33], v29, s[12:13] offset:16
	s_waitcnt vmcnt(2)
	v_mul_f32_e32 v20, v36, v26
	v_mul_f32_e32 v58, v19, v26
	v_fma_f32 v29, v19, v25, -v20
	v_mul_f32_e32 v19, v43, v28
	v_fmac_f32_e32 v58, v36, v25
	s_waitcnt lgkmcnt(0)
	v_mul_f32_e32 v36, v35, v28
	v_fma_f32 v35, v35, v27, -v19
	s_clause 0x1
	global_load_dwordx2 v[19:20], v57, s[12:13] offset:16
	global_load_dwordx2 v[25:26], v50, s[12:13] offset:16
	v_fmac_f32_e32 v36, v43, v27
	ds_read2st64_b32 v[27:28], v22 offset1:16
	v_sub_f32_e32 v35, v53, v35
	s_waitcnt vmcnt(3)
	v_mul_f32_e32 v43, v34, v18
	v_mul_f32_e32 v18, v42, v18
	v_fmac_f32_e32 v43, v42, v17
	v_fma_f32 v17, v34, v17, -v18
	s_waitcnt lgkmcnt(0)
	v_mul_f32_e32 v18, v28, v16
	v_mul_f32_e32 v16, v31, v16
	v_mul_lo_u16 v34, v38, 24
	v_fmac_f32_e32 v18, v31, v15
	v_fma_f32 v28, v28, v15, -v16
	ds_read2st64_b32 v[15:16], v22 offset0:36 offset1:40
	v_or_b32_e32 v34, v34, v39
	v_and_b32_e32 v34, 0xffff, v34
	v_lshl_add_u32 v50, v34, 2, 0
	v_sub_f32_e32 v34, v46, v36
	s_waitcnt vmcnt(2) lgkmcnt(0)
	v_mul_f32_e32 v31, v15, v33
	v_mul_f32_e32 v33, v40, v33
	v_fmac_f32_e32 v31, v40, v32
	v_fma_f32 v15, v15, v32, -v33
	v_mov_b32_e32 v32, 24
	v_lshrrev_b16 v40, 12, v14
	v_sub_f32_e32 v31, v55, v31
	v_sub_f32_e32 v15, v48, v15
	v_mul_u32_u24_sdwa v32, v44, v32 dst_sel:DWORD dst_unused:UNUSED_PAD src0_sel:WORD_0 src1_sel:DWORD
	v_mul_lo_u16 v33, v40, 24
	ds_read_b32 v44, v1
	s_waitcnt vmcnt(0) lgkmcnt(0)
	s_barrier
	v_or_b32_sdwa v32, v32, v47 dst_sel:DWORD dst_unused:UNUSED_PAD src0_sel:DWORD src1_sel:BYTE_0
	v_sub_nc_u16 v42, v0, v33
	v_mul_lo_u16 v33, v51, 24
	buffer_gl0_inv
	v_lshl_add_u32 v39, v32, 2, 0
	v_mul_f32_e32 v32, v16, v20
	v_mul_f32_e32 v20, v41, v20
	v_or_b32_e32 v33, v33, v52
	v_mul_u32_u24_sdwa v38, v42, v9 dst_sel:DWORD dst_unused:UNUSED_PAD src0_sel:BYTE_0 src1_sel:DWORD
	v_fmac_f32_e32 v32, v41, v19
	v_mul_f32_e32 v41, v54, v26
	v_fma_f32 v16, v16, v19, -v20
	v_mul_f32_e32 v19, v49, v26
	v_and_b32_e32 v33, 0xffff, v33
	v_sub_f32_e32 v20, v30, v56
	v_sub_f32_e32 v26, v27, v37
	v_fmac_f32_e32 v41, v49, v25
	v_fma_f32 v19, v54, v25, -v19
	v_lshl_add_u32 v47, v33, 2, 0
	v_fma_f32 v25, v30, 2.0, -v20
	v_fma_f32 v27, v27, 2.0, -v26
	;; [unrolled: 1-line block ×4, first 2 shown]
	v_sub_f32_e32 v37, v26, v31
	v_sub_f32_e32 v31, v45, v43
	;; [unrolled: 1-line block ×8, first 2 shown]
	v_fma_f32 v33, v45, 2.0, -v31
	v_fma_f32 v43, v44, 2.0, -v17
	;; [unrolled: 1-line block ×4, first 2 shown]
	v_sub_f32_e32 v44, v17, v32
	v_fma_f32 v32, v46, 2.0, -v34
	v_fma_f32 v46, v58, 2.0, -v36
	;; [unrolled: 1-line block ×4, first 2 shown]
	v_add_f32_e32 v15, v20, v15
	v_sub_f32_e32 v30, v25, v30
	v_add_f32_e32 v16, v31, v16
	v_sub_f32_e32 v18, v33, v18
	v_sub_f32_e32 v28, v43, v28
	v_add_f32_e32 v19, v34, v19
	v_sub_f32_e32 v46, v32, v46
	v_sub_f32_e32 v36, v35, v36
	;; [unrolled: 1-line block ×3, first 2 shown]
	v_lshlrev_b32_e32 v38, 3, v38
	v_fma_f32 v20, v20, 2.0, -v15
	v_fma_f32 v26, v26, 2.0, -v37
	;; [unrolled: 1-line block ×6, first 2 shown]
	ds_write2_b32 v39, v30, v15 offset0:12 offset1:18
	v_fma_f32 v15, v33, 2.0, -v18
	v_fma_f32 v43, v43, 2.0, -v28
	;; [unrolled: 1-line block ×6, first 2 shown]
	ds_write2_b32 v39, v25, v20 offset1:6
	ds_write2_b32 v47, v18, v16 offset0:12 offset1:18
	ds_write2_b32 v47, v15, v31 offset1:6
	ds_write2_b32 v50, v30, v29 offset1:6
	ds_write2_b32 v50, v46, v19 offset0:12 offset1:18
	s_waitcnt lgkmcnt(0)
	s_barrier
	buffer_gl0_inv
	ds_read2st64_b32 v[19:20], v22 offset1:16
	ds_read2st64_b32 v[29:30], v22 offset0:20 offset1:24
	ds_read2st64_b32 v[31:32], v22 offset0:36 offset1:40
	;; [unrolled: 1-line block ×3, first 2 shown]
	ds_read_b32 v46, v1
	ds_read_b32 v49, v24
	;; [unrolled: 1-line block ×3, first 2 shown]
	ds_read_b32 v52, v22 offset:11264
	s_waitcnt lgkmcnt(0)
	s_barrier
	buffer_gl0_inv
	ds_write2_b32 v39, v27, v26 offset1:6
	ds_write2_b32 v39, v41, v37 offset0:12 offset1:18
	ds_write2_b32 v47, v43, v17 offset1:6
	ds_write2_b32 v47, v28, v44 offset0:12 offset1:18
	;; [unrolled: 2-line block ×3, first 2 shown]
	s_waitcnt lgkmcnt(0)
	s_barrier
	buffer_gl0_inv
	global_load_dwordx4 v[15:18], v38, s[12:13] offset:144
	v_lshrrev_b32_e32 v39, 20, v11
	ds_read_b32 v37, v23
	v_lshrrev_b32_e32 v44, 20, v13
	ds_read2st64_b32 v[35:36], v22 offset0:20 offset1:24
	v_lshrrev_b32_e32 v11, 22, v11
	v_mul_lo_u16 v25, v39, 24
	v_mul_lo_u16 v45, v44, 24
	v_sub_nc_u16 v41, v7, v25
	v_sub_nc_u16 v45, v6, v45
	v_mul_lo_u16 v25, v41, 3
	v_mul_lo_u16 v47, v45, 3
	v_lshlrev_b32_sdwa v43, v9, v25 dst_sel:DWORD dst_unused:UNUSED_PAD src0_sel:DWORD src1_sel:WORD_0
	v_lshlrev_b32_sdwa v47, v9, v47 dst_sel:DWORD dst_unused:UNUSED_PAD src0_sel:DWORD src1_sel:WORD_0
	global_load_dwordx4 v[25:28], v43, s[12:13] offset:144
	ds_read_b32 v48, v24
	ds_read_b32 v50, v22 offset:11264
	s_waitcnt vmcnt(1) lgkmcnt(3)
	v_mul_f32_e32 v53, v37, v16
	v_mul_f32_e32 v16, v51, v16
	s_waitcnt lgkmcnt(2)
	v_mul_f32_e32 v54, v36, v18
	v_mul_f32_e32 v18, v30, v18
	v_fmac_f32_e32 v53, v51, v15
	v_fma_f32 v51, v37, v15, -v16
	v_fmac_f32_e32 v54, v30, v17
	v_fma_f32 v55, v36, v17, -v18
	global_load_dwordx4 v[15:18], v47, s[12:13] offset:144
	ds_read2st64_b32 v[36:37], v22 offset0:28 offset1:32
	s_waitcnt vmcnt(1)
	v_mul_f32_e32 v56, v35, v26
	v_mul_f32_e32 v26, v29, v26
	v_fmac_f32_e32 v56, v29, v25
	global_load_dwordx2 v[29:30], v38, s[12:13] offset:160
	v_fma_f32 v35, v35, v25, -v26
	s_waitcnt lgkmcnt(0)
	v_mul_f32_e32 v38, v37, v28
	v_mul_f32_e32 v25, v34, v28
	v_fmac_f32_e32 v38, v34, v27
	v_fma_f32 v37, v37, v27, -v25
	s_clause 0x1
	global_load_dwordx2 v[25:26], v47, s[12:13] offset:160
	global_load_dwordx2 v[27:28], v43, s[12:13] offset:160
	v_lshrrev_b16 v47, 14, v14
	v_mov_b32_e32 v14, 0x60
	v_sub_f32_e32 v37, v48, v37
	v_mul_u32_u24_sdwa v14, v40, v14 dst_sel:DWORD dst_unused:UNUSED_PAD src0_sel:WORD_0 src1_sel:DWORD
	v_or_b32_sdwa v14, v14, v42 dst_sel:DWORD dst_unused:UNUSED_PAD src0_sel:DWORD src1_sel:BYTE_0
	v_lshl_add_u32 v14, v14, 2, 0
	s_waitcnt vmcnt(3)
	v_mul_f32_e32 v43, v36, v18
	v_mul_f32_e32 v18, v33, v18
	v_fmac_f32_e32 v43, v33, v17
	ds_read2st64_b32 v[33:34], v22 offset1:16
	v_fma_f32 v17, v36, v17, -v18
	v_mul_lo_u16 v36, 0x60, v39
	ds_read_b32 v39, v1
	v_or_b32_e32 v36, v36, v41
	v_and_b32_e32 v36, 0xffff, v36
	s_waitcnt lgkmcnt(1)
	v_mul_f32_e32 v18, v34, v16
	v_mul_f32_e32 v16, v20, v16
	s_waitcnt lgkmcnt(0)
	v_sub_f32_e32 v17, v39, v17
	v_fmac_f32_e32 v18, v20, v15
	v_fma_f32 v20, v34, v15, -v16
	ds_read2st64_b32 v[15:16], v22 offset0:36 offset1:40
	v_mul_lo_u16 v34, 0x60, v47
	v_fma_f32 v39, v39, 2.0, -v17
	s_waitcnt vmcnt(0) lgkmcnt(0)
	s_barrier
	buffer_gl0_inv
	v_sub_nc_u16 v57, v0, v34
	v_mul_lo_u16 v34, 0x60, v44
	v_fma_f32 v44, v48, 2.0, -v37
	v_mul_u32_u24_sdwa v40, v57, v9 dst_sel:DWORD dst_unused:UNUSED_PAD src0_sel:BYTE_0 src1_sel:DWORD
	v_or_b32_e32 v34, v34, v45
	v_lshlrev_b32_e32 v40, 3, v40
	v_and_b32_e32 v34, 0xffff, v34
	v_mul_f32_e32 v41, v15, v30
	v_mul_f32_e32 v30, v31, v30
	v_fmac_f32_e32 v41, v31, v29
	v_fma_f32 v15, v15, v29, -v30
	v_mul_f32_e32 v29, v16, v26
	v_mul_f32_e32 v26, v32, v26
	v_lshl_add_u32 v30, v34, 2, 0
	v_sub_f32_e32 v34, v46, v43
	v_sub_f32_e32 v15, v51, v15
	v_fmac_f32_e32 v29, v32, v25
	v_mul_f32_e32 v32, v50, v28
	v_mul_f32_e32 v28, v52, v28
	v_fma_f32 v16, v16, v25, -v26
	v_sub_f32_e32 v26, v19, v54
	v_sub_f32_e32 v29, v18, v29
	v_fmac_f32_e32 v32, v52, v27
	v_fma_f32 v25, v50, v27, -v28
	v_sub_f32_e32 v27, v33, v55
	v_sub_f32_e32 v28, v53, v41
	;; [unrolled: 1-line block ×3, first 2 shown]
	v_lshl_add_u32 v31, v36, 2, 0
	v_sub_f32_e32 v36, v49, v38
	v_sub_f32_e32 v32, v56, v32
	;; [unrolled: 1-line block ×3, first 2 shown]
	v_fma_f32 v33, v33, 2.0, -v27
	v_fma_f32 v41, v51, 2.0, -v15
	;; [unrolled: 1-line block ×10, first 2 shown]
	v_sub_f32_e32 v28, v27, v28
	v_sub_f32_e32 v41, v33, v41
	v_add_f32_e32 v15, v26, v15
	v_sub_f32_e32 v38, v19, v38
	v_add_f32_e32 v16, v34, v16
	v_sub_f32_e32 v29, v17, v29
	v_sub_f32_e32 v18, v42, v18
	;; [unrolled: 1-line block ×3, first 2 shown]
	v_add_f32_e32 v25, v36, v25
	v_sub_f32_e32 v32, v37, v32
	v_sub_f32_e32 v45, v43, v45
	;; [unrolled: 1-line block ×3, first 2 shown]
	v_fma_f32 v27, v27, 2.0, -v28
	v_fma_f32 v49, v33, 2.0, -v41
	;; [unrolled: 1-line block ×12, first 2 shown]
	ds_write2_b32 v14, v38, v15 offset0:48 offset1:72
	ds_write2_b32 v14, v19, v26 offset1:24
	ds_write2_b32 v30, v33, v34 offset1:24
	ds_write2_b32 v30, v18, v16 offset0:48 offset1:72
	ds_write2_b32 v31, v36, v35 offset1:24
	ds_write2_b32 v31, v45, v25 offset0:48 offset1:72
	s_waitcnt lgkmcnt(0)
	s_barrier
	buffer_gl0_inv
	ds_read2st64_b32 v[18:19], v22 offset1:16
	ds_read2st64_b32 v[33:34], v22 offset0:20 offset1:24
	ds_read2st64_b32 v[35:36], v22 offset0:36 offset1:40
	;; [unrolled: 1-line block ×3, first 2 shown]
	ds_read_b32 v50, v1
	ds_read_b32 v51, v24
	;; [unrolled: 1-line block ×3, first 2 shown]
	ds_read_b32 v53, v22 offset:11264
	s_waitcnt lgkmcnt(0)
	s_barrier
	buffer_gl0_inv
	ds_write2_b32 v14, v49, v27 offset1:24
	ds_write2_b32 v14, v41, v28 offset0:48 offset1:72
	ds_write2_b32 v30, v39, v17 offset1:24
	ds_write2_b32 v30, v20, v29 offset0:48 offset1:72
	;; [unrolled: 2-line block ×3, first 2 shown]
	s_waitcnt lgkmcnt(0)
	s_barrier
	buffer_gl0_inv
	global_load_dwordx4 v[14:17], v40, s[12:13] offset:720
	v_mul_lo_u16 v20, 0x60, v11
	v_lshrrev_b32_e32 v49, 22, v13
	v_mul_lo_u16 v11, 0x180, v11
	v_sub_nc_u16 v48, v7, v20
	v_mul_lo_u16 v20, v48, 3
	v_or_b32_e32 v11, v11, v48
	v_lshlrev_b32_sdwa v13, v9, v20 dst_sel:DWORD dst_unused:UNUSED_PAD src0_sel:DWORD src1_sel:WORD_0
	v_mul_lo_u16 v20, 0x60, v49
	v_and_b32_e32 v11, 0xffff, v11
	global_load_dwordx4 v[25:28], v13, s[12:13] offset:720
	v_sub_nc_u16 v20, v6, v20
	v_lshl_add_u32 v11, v11, 2, 0
	v_mul_lo_u16 v29, v20, 3
	v_lshlrev_b32_sdwa v9, v9, v29 dst_sel:DWORD dst_unused:UNUSED_PAD src0_sel:DWORD src1_sel:WORD_0
	s_clause 0x3
	global_load_dwordx4 v[29:32], v9, s[12:13] offset:720
	global_load_dwordx2 v[39:40], v40, s[12:13] offset:736
	global_load_dwordx2 v[41:42], v9, s[12:13] offset:736
	;; [unrolled: 1-line block ×3, first 2 shown]
	ds_read_b32 v9, v23
	ds_read2st64_b32 v[45:46], v22 offset0:20 offset1:24
	ds_read_b32 v54, v24
	ds_read_b32 v55, v22 offset:11264
	s_waitcnt vmcnt(5) lgkmcnt(3)
	v_mul_f32_e32 v56, v9, v15
	v_mul_f32_e32 v13, v52, v15
	v_fmac_f32_e32 v56, v52, v14
	s_waitcnt lgkmcnt(2)
	v_mul_f32_e32 v52, v46, v17
	v_fma_f32 v9, v9, v14, -v13
	v_mul_f32_e32 v13, v34, v17
	v_fmac_f32_e32 v52, v34, v16
	v_fma_f32 v34, v46, v16, -v13
	ds_read2st64_b32 v[13:14], v22 offset0:28 offset1:32
	ds_read2st64_b32 v[15:16], v22 offset1:16
	s_waitcnt vmcnt(4)
	v_mul_f32_e32 v46, v45, v26
	v_mul_f32_e32 v17, v33, v26
	v_fmac_f32_e32 v46, v33, v25
	v_fma_f32 v33, v45, v25, -v17
	v_mul_f32_e32 v17, v38, v28
	ds_read2st64_b32 v[25:26], v22 offset0:36 offset1:40
	s_waitcnt lgkmcnt(2)
	v_mul_f32_e32 v45, v14, v28
	s_waitcnt vmcnt(3)
	v_mul_f32_e32 v28, v13, v32
	s_waitcnt lgkmcnt(1)
	v_sub_f32_e32 v34, v15, v34
	v_fmac_f32_e32 v45, v38, v27
	v_fma_f32 v27, v14, v27, -v17
	v_mul_f32_e32 v14, v37, v32
	v_mul_f32_e32 v32, v16, v30
	;; [unrolled: 1-line block ×3, first 2 shown]
	v_fmac_f32_e32 v28, v37, v31
	v_sub_f32_e32 v27, v54, v27
	v_fma_f32 v30, v13, v31, -v14
	v_add_nc_u32_e32 v14, 0xffffff80, v0
	v_fmac_f32_e32 v32, v19, v29
	v_fma_f32 v29, v16, v29, -v17
	v_mul_u32_u24_e32 v16, 3, v0
	v_mov_b32_e32 v13, 0x180
	s_waitcnt vmcnt(2)
	v_mul_f32_e32 v17, v35, v40
	v_cndmask_b32_e64 v58, v14, v6, s0
	s_waitcnt lgkmcnt(0)
	v_mul_f32_e32 v37, v25, v40
	v_lshlrev_b32_e32 v16, 3, v16
	v_mul_u32_u24_sdwa v38, v47, v13 dst_sel:DWORD dst_unused:UNUSED_PAD src0_sel:WORD_0 src1_sel:DWORD
	v_fma_f32 v25, v25, v39, -v17
	v_mov_b32_e32 v14, 0
	v_mul_i32_i24_e32 v13, 3, v58
	s_waitcnt vmcnt(1)
	v_mul_f32_e32 v17, v36, v42
	ds_read_b32 v31, v1
	v_mul_lo_u16 v19, 0x180, v49
	v_add_co_u32 v49, s0, s12, v16
	v_mul_f32_e32 v40, v26, v42
	v_add_co_ci_u32_e64 v59, null, s13, 0, s0
	v_fma_f32 v26, v26, v41, -v17
	v_lshlrev_b64 v[16:17], 3, v[13:14]
	v_fmac_f32_e32 v37, v35, v39
	v_or_b32_e32 v13, v19, v20
	v_add_co_u32 v19, s0, 0x800, v49
	v_or_b32_sdwa v35, v38, v57 dst_sel:DWORD dst_unused:UNUSED_PAD src0_sel:DWORD src1_sel:BYTE_0
	v_add_co_ci_u32_e64 v20, s0, 0, v59, s0
	v_add_co_u32 v47, s0, s12, v16
	v_add_co_ci_u32_e64 v48, s0, s13, v17, s0
	v_lshl_add_u32 v16, v35, 2, 0
	s_waitcnt vmcnt(0)
	v_mul_f32_e32 v17, v55, v44
	v_mul_f32_e32 v35, v53, v44
	v_fmac_f32_e32 v40, v36, v41
	v_sub_f32_e32 v25, v9, v25
	v_sub_f32_e32 v36, v18, v52
	v_fmac_f32_e32 v17, v53, v43
	v_fma_f32 v35, v55, v43, -v35
	v_sub_f32_e32 v37, v56, v37
	v_sub_f32_e32 v28, v50, v28
	s_waitcnt lgkmcnt(0)
	v_sub_f32_e32 v30, v31, v30
	v_sub_f32_e32 v40, v32, v40
	;; [unrolled: 1-line block ×6, first 2 shown]
	v_fma_f32 v15, v15, 2.0, -v34
	v_fma_f32 v9, v9, 2.0, -v25
	;; [unrolled: 1-line block ×4, first 2 shown]
	v_sub_f32_e32 v44, v34, v37
	v_fma_f32 v37, v50, 2.0, -v28
	v_fma_f32 v31, v31, 2.0, -v30
	;; [unrolled: 1-line block ×4, first 2 shown]
	v_and_b32_e32 v13, 0xffff, v13
	v_fma_f32 v45, v51, 2.0, -v42
	v_fma_f32 v50, v54, 2.0, -v27
	;; [unrolled: 1-line block ×4, first 2 shown]
	v_sub_f32_e32 v9, v15, v9
	v_add_f32_e32 v25, v36, v25
	v_sub_f32_e32 v43, v18, v43
	v_add_f32_e32 v26, v28, v26
	v_sub_f32_e32 v40, v30, v40
	v_sub_f32_e32 v32, v37, v32
	;; [unrolled: 1-line block ×3, first 2 shown]
	v_lshl_add_u32 v13, v13, 2, 0
	v_add_f32_e32 v35, v42, v35
	v_sub_f32_e32 v17, v27, v17
	v_sub_f32_e32 v29, v45, v46
	;; [unrolled: 1-line block ×3, first 2 shown]
	v_add_nc_u32_e32 v38, 0x200, v16
	v_fma_f32 v51, v34, 2.0, -v44
	v_fma_f32 v15, v15, 2.0, -v9
	;; [unrolled: 1-line block ×8, first 2 shown]
	v_add_nc_u32_e32 v39, 0x200, v13
	v_fma_f32 v30, v42, 2.0, -v35
	v_fma_f32 v27, v27, 2.0, -v17
	;; [unrolled: 1-line block ×4, first 2 shown]
	v_add_nc_u32_e32 v41, 0x200, v11
	s_barrier
	buffer_gl0_inv
	ds_write2_b32 v38, v43, v25 offset0:64 offset1:160
	ds_write2_b32 v16, v18, v36 offset1:96
	ds_write2_b32 v13, v33, v28 offset1:96
	ds_write2_b32 v39, v32, v26 offset0:64 offset1:160
	ds_write2_b32 v11, v34, v30 offset1:96
	ds_write2_b32 v41, v29, v35 offset0:64 offset1:160
	s_waitcnt lgkmcnt(0)
	s_barrier
	buffer_gl0_inv
	ds_read2st64_b32 v[29:30], v22 offset1:16
	ds_read2st64_b32 v[32:33], v22 offset0:20 offset1:24
	ds_read2st64_b32 v[34:35], v22 offset0:36 offset1:40
	;; [unrolled: 1-line block ×3, first 2 shown]
	ds_read_b32 v50, v1
	ds_read_b32 v54, v24
	;; [unrolled: 1-line block ×3, first 2 shown]
	ds_read_b32 v56, v22 offset:11264
	s_waitcnt lgkmcnt(0)
	s_barrier
	buffer_gl0_inv
	ds_write2_b32 v16, v15, v51 offset1:96
	ds_write2_b32 v38, v9, v44 offset0:64 offset1:160
	ds_write2_b32 v13, v31, v53 offset1:96
	ds_write2_b32 v39, v52, v40 offset0:64 offset1:160
	;; [unrolled: 2-line block ×3, first 2 shown]
	s_waitcnt lgkmcnt(0)
	s_barrier
	buffer_gl0_inv
	global_load_dwordx4 v[15:18], v[19:20], off offset:976
	v_add_co_u32 v19, s0, 0x800, v47
	v_add_co_ci_u32_e64 v20, s0, 0, v48, s0
	global_load_dwordx4 v[25:28], v[19:20], off offset:976
	v_add_co_u32 v19, s0, 0xbd0, v49
	v_add_co_ci_u32_e64 v20, s0, 0, v59, s0
	v_add_co_u32 v46, s0, 0xbd0, v47
	v_add_co_ci_u32_e64 v47, s0, 0, v48, s0
	global_load_dwordx2 v[19:20], v[19:20], off offset:16
	ds_read_b32 v9, v23
	ds_read2st64_b32 v[38:39], v22 offset0:20 offset1:24
	ds_read2st64_b32 v[40:41], v22 offset1:16
	ds_read2st64_b32 v[42:43], v22 offset0:28 offset1:32
	ds_read2st64_b32 v[44:45], v22 offset0:36 offset1:40
	ds_read_b32 v11, v24
	ds_read_b32 v13, v22 offset:11264
	global_load_dwordx2 v[46:47], v[46:47], off offset:16
	s_waitcnt vmcnt(3) lgkmcnt(6)
	v_mul_f32_e32 v51, v9, v16
	v_mul_f32_e32 v16, v55, v16
	s_waitcnt lgkmcnt(5)
	v_mul_f32_e32 v48, v39, v18
	v_mul_f32_e32 v18, v33, v18
	v_fmac_f32_e32 v51, v55, v15
	v_fma_f32 v9, v9, v15, -v16
	v_fmac_f32_e32 v48, v33, v17
	s_waitcnt vmcnt(2) lgkmcnt(4)
	v_mul_f32_e32 v52, v41, v26
	v_mul_f32_e32 v15, v30, v26
	s_waitcnt lgkmcnt(3)
	v_mul_f32_e32 v26, v42, v28
	v_mul_f32_e32 v16, v36, v28
	v_fma_f32 v33, v39, v17, -v18
	v_fmac_f32_e32 v52, v30, v25
	v_fma_f32 v25, v41, v25, -v15
	v_add_co_u32 v15, s0, 0x1000, v49
	s_waitcnt vmcnt(1) lgkmcnt(2)
	v_mul_f32_e32 v28, v44, v20
	v_mul_f32_e32 v17, v34, v20
	v_fmac_f32_e32 v26, v36, v27
	v_fma_f32 v27, v42, v27, -v16
	v_add_co_ci_u32_e64 v16, s0, 0, v59, s0
	v_fmac_f32_e32 v28, v34, v19
	v_fma_f32 v30, v44, v19, -v17
	v_add_co_u32 v19, s0, 0x17d0, v49
	global_load_dwordx4 v[15:18], v[15:16], off offset:2000
	v_add_co_ci_u32_e64 v20, s0, 0, v59, s0
	ds_read_b32 v39, v1
	s_waitcnt vmcnt(1)
	v_mul_f32_e32 v34, v45, v47
	v_mul_f32_e32 v31, v35, v47
	global_load_dwordx2 v[19:20], v[19:20], off offset:16
	v_cmp_lt_u32_e64 s0, 0x17f, v6
	v_sub_f32_e32 v33, v40, v33
	v_fmac_f32_e32 v34, v35, v46
	v_fma_f32 v36, v45, v46, -v31
	v_sub_f32_e32 v26, v50, v26
	v_cndmask_b32_e64 v35, 0, 0x600, s0
	v_lshl_add_u32 v31, v10, 2, 0
	v_lshl_add_u32 v42, v0, 2, 0
	s_waitcnt vmcnt(0) lgkmcnt(0)
	s_barrier
	v_or_b32_e32 v35, v35, v58
	buffer_gl0_inv
	v_lshl_add_u32 v35, v35, 2, 0
	v_mul_f32_e32 v41, v38, v16
	v_mul_f32_e32 v16, v32, v16
	v_mul_f32_e32 v44, v43, v18
	v_fmac_f32_e32 v41, v32, v15
	v_fma_f32 v15, v38, v15, -v16
	v_mul_f32_e32 v16, v37, v18
	v_mul_f32_e32 v18, v13, v20
	;; [unrolled: 1-line block ×3, first 2 shown]
	v_fmac_f32_e32 v44, v37, v17
	v_sub_f32_e32 v37, v39, v27
	v_fma_f32 v16, v43, v17, -v16
	v_fmac_f32_e32 v18, v56, v19
	v_fma_f32 v13, v13, v19, -v20
	v_sub_f32_e32 v17, v29, v48
	v_sub_f32_e32 v19, v51, v28
	;; [unrolled: 1-line block ×8, first 2 shown]
	v_fma_f32 v16, v29, 2.0, -v17
	v_fma_f32 v29, v51, 2.0, -v19
	;; [unrolled: 1-line block ×3, first 2 shown]
	v_sub_f32_e32 v38, v33, v19
	v_fma_f32 v19, v50, 2.0, -v26
	v_fma_f32 v40, v52, 2.0, -v27
	v_sub_f32_e32 v13, v15, v13
	v_fma_f32 v9, v9, 2.0, -v20
	v_fma_f32 v39, v39, 2.0, -v37
	v_fma_f32 v25, v25, 2.0, -v28
	v_add_f32_e32 v28, v26, v28
	v_sub_f32_e32 v43, v37, v27
	v_fma_f32 v27, v54, 2.0, -v30
	v_fma_f32 v41, v41, 2.0, -v36
	v_add_f32_e32 v20, v17, v20
	v_sub_f32_e32 v29, v16, v29
	v_sub_f32_e32 v40, v19, v40
	v_fma_f32 v11, v11, 2.0, -v34
	v_fma_f32 v15, v15, 2.0, -v13
	v_add_f32_e32 v13, v30, v13
	v_sub_f32_e32 v9, v18, v9
	v_sub_f32_e32 v44, v39, v25
	v_fma_f32 v25, v26, 2.0, -v28
	v_sub_f32_e32 v26, v27, v41
	v_fma_f32 v17, v17, 2.0, -v20
	v_fma_f32 v16, v16, 2.0, -v29
	;; [unrolled: 1-line block ×3, first 2 shown]
	v_sub_f32_e32 v41, v11, v15
	v_fma_f32 v15, v30, 2.0, -v13
	v_fma_f32 v45, v18, 2.0, -v9
	;; [unrolled: 1-line block ×3, first 2 shown]
	v_lshl_add_u32 v32, v12, 2, 0
	ds_write2st64_b32 v22, v29, v20 offset0:12 offset1:18
	ds_write2st64_b32 v22, v16, v17 offset1:6
	ds_write2st64_b32 v35, v19, v25 offset1:6
	ds_write2st64_b32 v35, v40, v28 offset0:12 offset1:18
	ds_write_b32 v22, v18 offset:6656
	ds_write2st64_b32 v42, v15, v26 offset0:32 offset1:38
	ds_write_b32 v42, v13 offset:11264
	s_waitcnt lgkmcnt(0)
	s_barrier
	buffer_gl0_inv
	ds_read2st64_b32 v[15:16], v22 offset1:24
	ds_read2st64_b32 v[17:18], v22 offset0:28 offset1:32
	ds_read2st64_b32 v[19:20], v22 offset0:36 offset1:40
	ds_read_b32 v27, v31
	ds_read_b32 v25, v1
	;; [unrolled: 1-line block ×5, first 2 shown]
	ds_read_b32 v30, v22 offset:11264
	v_sub_f32_e32 v1, v34, v36
	v_fma_f32 v13, v33, 2.0, -v38
	v_fma_f32 v33, v39, 2.0, -v44
	;; [unrolled: 1-line block ×5, first 2 shown]
	s_waitcnt lgkmcnt(0)
	s_barrier
	buffer_gl0_inv
	ds_write2st64_b32 v22, v45, v13 offset1:6
	ds_write2st64_b32 v22, v9, v38 offset0:12 offset1:18
	ds_write2st64_b32 v35, v33, v36 offset1:6
	ds_write2st64_b32 v35, v44, v43 offset0:12 offset1:18
	ds_write_b32 v22, v11 offset:6656
	ds_write2st64_b32 v42, v34, v41 offset0:32 offset1:38
	ds_write_b32 v42, v1 offset:11264
	s_waitcnt lgkmcnt(0)
	s_barrier
	buffer_gl0_inv
	s_and_saveexec_b32 s0, vcc_lo
	s_cbranch_execz .LBB0_15
; %bb.14:
	v_mov_b32_e32 v11, v14
	v_mov_b32_e32 v9, v14
	;; [unrolled: 1-line block ×3, first 2 shown]
	v_mul_lo_u32 v41, s2, v5
	v_add_nc_u32_e32 v42, 0x100, v0
	v_lshlrev_b64 v[10:11], 3, v[10:11]
	v_lshlrev_b64 v[8:9], 3, v[8:9]
	;; [unrolled: 1-line block ×3, first 2 shown]
	v_add_nc_u32_e32 v43, 0x200, v0
	v_mul_hi_u32 v47, 0xaaaaaaab, v42
	v_add_nc_u32_e32 v44, 0x300, v0
	v_add_co_u32 v1, vcc_lo, s12, v10
	v_add_co_ci_u32_e32 v10, vcc_lo, s13, v11, vcc_lo
	v_add_co_u32 v8, vcc_lo, s12, v8
	v_add_co_ci_u32_e32 v11, vcc_lo, s13, v9, vcc_lo
	;; [unrolled: 2-line block ×3, first 2 shown]
	v_add_co_u32 v33, vcc_lo, 0x2800, v8
	v_mov_b32_e32 v8, v14
	v_add_co_ci_u32_e32 v34, vcc_lo, 0, v11, vcc_lo
	v_add_co_u32 v1, vcc_lo, s12, v12
	v_add_co_ci_u32_e32 v13, vcc_lo, s13, v13, vcc_lo
	v_lshlrev_b64 v[7:8], 3, v[7:8]
	s_clause 0x1
	global_load_dwordx2 v[9:10], v[9:10], off offset:2000
	global_load_dwordx2 v[11:12], v[33:34], off offset:2000
	v_add_co_u32 v33, vcc_lo, 0x2800, v1
	v_add_co_ci_u32_e32 v34, vcc_lo, 0, v13, vcc_lo
	v_add_co_u32 v1, vcc_lo, s12, v7
	v_add_co_ci_u32_e32 v8, vcc_lo, s13, v8, vcc_lo
	v_mov_b32_e32 v7, v14
	v_add_co_u32 v35, vcc_lo, 0x2800, v1
	v_mov_b32_e32 v1, v14
	v_add_co_ci_u32_e32 v36, vcc_lo, 0, v8, vcc_lo
	v_lshlrev_b64 v[7:8], 3, v[6:7]
	s_clause 0x1
	global_load_dwordx2 v[33:34], v[33:34], off offset:2000
	global_load_dwordx2 v[35:36], v[35:36], off offset:2000
	v_lshlrev_b64 v[37:38], 3, v[0:1]
	v_mul_i32_i24_e32 v6, 0xffffffec, v6
	v_add_nc_u32_e32 v45, 0x400, v0
	v_add_co_u32 v1, vcc_lo, s12, v7
	v_add_co_ci_u32_e32 v8, vcc_lo, s13, v8, vcc_lo
	v_add_co_u32 v13, vcc_lo, s12, v37
	v_add_co_ci_u32_e32 v38, vcc_lo, s13, v38, vcc_lo
	;; [unrolled: 2-line block ×4, first 2 shown]
	s_clause 0x1
	global_load_dwordx2 v[7:8], v[7:8], off offset:2000
	global_load_dwordx2 v[37:38], v[37:38], off offset:2000
	v_mul_lo_u32 v13, s3, v4
	v_mad_u64_u32 v[4:5], null, s2, v4, 0
	ds_read2st64_b32 v[39:40], v22 offset0:36 offset1:40
	ds_read_b32 v49, v22 offset:11264
	ds_read_b32 v50, v23
	ds_read_b32 v51, v32
	;; [unrolled: 1-line block ×4, first 2 shown]
	ds_read2st64_b32 v[23:24], v22 offset0:28 offset1:32
	ds_read2st64_b32 v[31:32], v22 offset1:24
	v_mul_hi_u32 v22, 0xaaaaaaab, v0
	v_lshlrev_b64 v[1:2], 3, v[2:3]
	v_add_nc_u32_e32 v46, 0x500, v0
	v_add_nc_u32_e32 v6, v21, v6
	v_mul_hi_u32 v48, 0xaaaaaaab, v43
	v_add3_u32 v5, v5, v41, v13
	v_mul_hi_u32 v54, 0xaaaaaaab, v44
	v_mul_hi_u32 v13, 0xaaaaaaab, v45
	v_lshrrev_b32_e32 v3, 10, v22
	v_mul_hi_u32 v22, 0xaaaaaaab, v46
	ds_read_b32 v59, v6
	v_lshrrev_b32_e32 v41, 10, v48
	v_mul_u32_u24_e32 v21, 0x600, v3
	v_lshlrev_b64 v[3:4], 3, v[4:5]
	v_lshrrev_b32_e32 v5, 10, v47
	v_lshrrev_b32_e32 v47, 10, v54
	;; [unrolled: 1-line block ×3, first 2 shown]
	v_sub_nc_u32_e32 v55, v0, v21
	v_lshrrev_b32_e32 v54, 10, v22
	v_mul_u32_u24_e32 v0, 0x600, v5
	v_mul_u32_u24_e32 v21, 0x600, v41
	;; [unrolled: 1-line block ×5, first 2 shown]
	v_sub_nc_u32_e32 v0, v42, v0
	v_add_co_u32 v42, vcc_lo, s10, v3
	v_add_co_ci_u32_e32 v58, vcc_lo, s11, v4, vcc_lo
	v_mad_u32_u24 v13, 0xc00, v5, v0
	v_sub_nc_u32_e32 v5, v43, v21
	v_sub_nc_u32_e32 v45, v45, v56
	;; [unrolled: 1-line block ×3, first 2 shown]
	v_add_co_u32 v57, vcc_lo, v42, v1
	v_lshlrev_b64 v[3:4], 3, v[13:14]
	v_add_nc_u32_e32 v13, 0x600, v13
	v_add_co_ci_u32_e32 v58, vcc_lo, v58, v2, vcc_lo
	v_sub_nc_u32_e32 v43, v44, v22
	v_lshlrev_b32_e32 v6, 3, v55
	v_lshlrev_b64 v[0:1], 3, v[13:14]
	v_mad_u32_u24 v13, 0xc00, v41, v5
	v_add_co_u32 v2, vcc_lo, v57, v3
	v_add_co_ci_u32_e32 v3, vcc_lo, v58, v4, vcc_lo
	v_lshlrev_b64 v[4:5], 3, v[13:14]
	v_add_nc_u32_e32 v13, 0x600, v13
	v_add_co_u32 v0, vcc_lo, v57, v0
	v_add_co_ci_u32_e32 v1, vcc_lo, v58, v1, vcc_lo
	v_lshlrev_b64 v[21:22], 3, v[13:14]
	v_mad_u32_u24 v13, 0xc00, v47, v43
	v_add_co_u32 v4, vcc_lo, v57, v4
	v_add_co_ci_u32_e32 v5, vcc_lo, v58, v5, vcc_lo
	v_lshlrev_b64 v[41:42], 3, v[13:14]
	v_add_nc_u32_e32 v13, 0x600, v13
	v_add_co_u32 v21, vcc_lo, v57, v21
	v_add_co_ci_u32_e32 v22, vcc_lo, v58, v22, vcc_lo
	;; [unrolled: 8-line block ×3, first 2 shown]
	v_lshlrev_b64 v[47:48], 3, v[13:14]
	v_mad_u32_u24 v13, 0xc00, v54, v56
	v_add_co_u32 v45, vcc_lo, v57, v45
	v_add_co_ci_u32_e32 v46, vcc_lo, v58, v46, vcc_lo
	s_waitcnt vmcnt(5)
	v_mul_f32_e32 v54, v20, v10
	s_waitcnt lgkmcnt(8)
	v_mul_f32_e32 v56, v40, v10
	s_waitcnt vmcnt(4)
	v_mul_f32_e32 v55, v19, v12
	v_mul_f32_e32 v60, v39, v12
	v_fma_f32 v54, v9, v40, -v54
	v_fmac_f32_e32 v56, v20, v9
	v_add_co_u32 v9, vcc_lo, v57, v6
	v_add_co_ci_u32_e32 v10, vcc_lo, 0, v58, vcc_lo
	v_fma_f32 v55, v11, v39, -v55
	v_add_co_u32 v39, vcc_lo, 0x3000, v9
	v_add_co_ci_u32_e32 v40, vcc_lo, 0, v10, vcc_lo
	v_fmac_f32_e32 v60, v19, v11
	s_waitcnt vmcnt(3)
	v_mul_f32_e32 v6, v30, v34
	s_waitcnt lgkmcnt(7)
	v_mul_f32_e32 v34, v49, v34
	v_add_co_u32 v19, vcc_lo, v57, v47
	s_waitcnt vmcnt(2)
	v_mul_f32_e32 v47, v18, v36
	s_waitcnt lgkmcnt(2)
	v_mul_f32_e32 v36, v24, v36
	v_fmac_f32_e32 v34, v30, v33
	v_add_co_ci_u32_e32 v20, vcc_lo, v58, v48, vcc_lo
	v_fma_f32 v6, v33, v49, -v6
	v_fmac_f32_e32 v36, v18, v35
	v_lshlrev_b64 v[11:12], 3, v[13:14]
	v_add_nc_u32_e32 v13, 0x600, v13
	v_fma_f32 v33, v35, v24, -v47
	v_sub_f32_e32 v24, v50, v55
	v_lshlrev_b64 v[13:14], 3, v[13:14]
	v_sub_f32_e32 v33, v53, v33
	v_add_co_u32 v11, vcc_lo, v57, v11
	v_add_co_ci_u32_e32 v12, vcc_lo, v58, v12, vcc_lo
	s_waitcnt vmcnt(0)
	v_mul_f32_e32 v30, v16, v38
	s_waitcnt lgkmcnt(1)
	v_mul_f32_e32 v38, v32, v38
	v_mul_f32_e32 v48, v17, v8
	;; [unrolled: 1-line block ×3, first 2 shown]
	v_add_co_u32 v13, vcc_lo, v57, v13
	v_fma_f32 v30, v37, v32, -v30
	v_fmac_f32_e32 v38, v16, v37
	v_fma_f32 v18, v7, v23, -v48
	v_fmac_f32_e32 v8, v17, v7
	v_sub_f32_e32 v7, v51, v6
	v_sub_f32_e32 v17, v52, v54
	;; [unrolled: 1-line block ×8, first 2 shown]
	s_waitcnt lgkmcnt(0)
	v_sub_f32_e32 v35, v59, v18
	v_sub_f32_e32 v34, v25, v8
	v_fma_f32 v30, v51, 2.0, -v7
	v_fma_f32 v48, v52, 2.0, -v17
	v_fma_f32 v52, v31, 2.0, -v37
	v_fma_f32 v51, v15, 2.0, -v36
	v_fma_f32 v47, v27, 2.0, -v16
	v_fma_f32 v49, v28, 2.0, -v23
	v_fma_f32 v28, v59, 2.0, -v35
	v_fma_f32 v27, v25, 2.0, -v34
	v_fma_f32 v54, v53, 2.0, -v33
	v_fma_f32 v53, v26, 2.0, -v32
	v_add_co_ci_u32_e32 v14, vcc_lo, v58, v14, vcc_lo
	v_fma_f32 v29, v29, 2.0, -v6
	v_fma_f32 v50, v50, 2.0, -v24
	global_store_dwordx2 v[39:40], v[36:37], off
	global_store_dwordx2 v[9:10], v[51:52], off
	;; [unrolled: 1-line block ×12, first 2 shown]
.LBB0_15:
	s_endpgm
	.section	.rodata,"a",@progbits
	.p2align	6, 0x0
	.amdhsa_kernel fft_rtc_back_len3072_factors_6_4_4_4_4_2_wgs_256_tpt_256_halfLds_sp_op_CI_CI_unitstride_sbrr_dirReg
		.amdhsa_group_segment_fixed_size 0
		.amdhsa_private_segment_fixed_size 0
		.amdhsa_kernarg_size 104
		.amdhsa_user_sgpr_count 6
		.amdhsa_user_sgpr_private_segment_buffer 1
		.amdhsa_user_sgpr_dispatch_ptr 0
		.amdhsa_user_sgpr_queue_ptr 0
		.amdhsa_user_sgpr_kernarg_segment_ptr 1
		.amdhsa_user_sgpr_dispatch_id 0
		.amdhsa_user_sgpr_flat_scratch_init 0
		.amdhsa_user_sgpr_private_segment_size 0
		.amdhsa_wavefront_size32 1
		.amdhsa_uses_dynamic_stack 0
		.amdhsa_system_sgpr_private_segment_wavefront_offset 0
		.amdhsa_system_sgpr_workgroup_id_x 1
		.amdhsa_system_sgpr_workgroup_id_y 0
		.amdhsa_system_sgpr_workgroup_id_z 0
		.amdhsa_system_sgpr_workgroup_info 0
		.amdhsa_system_vgpr_workitem_id 0
		.amdhsa_next_free_vgpr 61
		.amdhsa_next_free_sgpr 27
		.amdhsa_reserve_vcc 1
		.amdhsa_reserve_flat_scratch 0
		.amdhsa_float_round_mode_32 0
		.amdhsa_float_round_mode_16_64 0
		.amdhsa_float_denorm_mode_32 3
		.amdhsa_float_denorm_mode_16_64 3
		.amdhsa_dx10_clamp 1
		.amdhsa_ieee_mode 1
		.amdhsa_fp16_overflow 0
		.amdhsa_workgroup_processor_mode 1
		.amdhsa_memory_ordered 1
		.amdhsa_forward_progress 0
		.amdhsa_shared_vgpr_count 0
		.amdhsa_exception_fp_ieee_invalid_op 0
		.amdhsa_exception_fp_denorm_src 0
		.amdhsa_exception_fp_ieee_div_zero 0
		.amdhsa_exception_fp_ieee_overflow 0
		.amdhsa_exception_fp_ieee_underflow 0
		.amdhsa_exception_fp_ieee_inexact 0
		.amdhsa_exception_int_div_zero 0
	.end_amdhsa_kernel
	.text
.Lfunc_end0:
	.size	fft_rtc_back_len3072_factors_6_4_4_4_4_2_wgs_256_tpt_256_halfLds_sp_op_CI_CI_unitstride_sbrr_dirReg, .Lfunc_end0-fft_rtc_back_len3072_factors_6_4_4_4_4_2_wgs_256_tpt_256_halfLds_sp_op_CI_CI_unitstride_sbrr_dirReg
                                        ; -- End function
	.section	.AMDGPU.csdata,"",@progbits
; Kernel info:
; codeLenInByte = 8176
; NumSgprs: 29
; NumVgprs: 61
; ScratchSize: 0
; MemoryBound: 0
; FloatMode: 240
; IeeeMode: 1
; LDSByteSize: 0 bytes/workgroup (compile time only)
; SGPRBlocks: 3
; VGPRBlocks: 7
; NumSGPRsForWavesPerEU: 29
; NumVGPRsForWavesPerEU: 61
; Occupancy: 16
; WaveLimiterHint : 1
; COMPUTE_PGM_RSRC2:SCRATCH_EN: 0
; COMPUTE_PGM_RSRC2:USER_SGPR: 6
; COMPUTE_PGM_RSRC2:TRAP_HANDLER: 0
; COMPUTE_PGM_RSRC2:TGID_X_EN: 1
; COMPUTE_PGM_RSRC2:TGID_Y_EN: 0
; COMPUTE_PGM_RSRC2:TGID_Z_EN: 0
; COMPUTE_PGM_RSRC2:TIDIG_COMP_CNT: 0
	.text
	.p2alignl 6, 3214868480
	.fill 48, 4, 3214868480
	.type	__hip_cuid_b2aa6890ba2058af,@object ; @__hip_cuid_b2aa6890ba2058af
	.section	.bss,"aw",@nobits
	.globl	__hip_cuid_b2aa6890ba2058af
__hip_cuid_b2aa6890ba2058af:
	.byte	0                               ; 0x0
	.size	__hip_cuid_b2aa6890ba2058af, 1

	.ident	"AMD clang version 19.0.0git (https://github.com/RadeonOpenCompute/llvm-project roc-6.4.0 25133 c7fe45cf4b819c5991fe208aaa96edf142730f1d)"
	.section	".note.GNU-stack","",@progbits
	.addrsig
	.addrsig_sym __hip_cuid_b2aa6890ba2058af
	.amdgpu_metadata
---
amdhsa.kernels:
  - .args:
      - .actual_access:  read_only
        .address_space:  global
        .offset:         0
        .size:           8
        .value_kind:     global_buffer
      - .offset:         8
        .size:           8
        .value_kind:     by_value
      - .actual_access:  read_only
        .address_space:  global
        .offset:         16
        .size:           8
        .value_kind:     global_buffer
      - .actual_access:  read_only
        .address_space:  global
        .offset:         24
        .size:           8
        .value_kind:     global_buffer
      - .actual_access:  read_only
        .address_space:  global
        .offset:         32
        .size:           8
        .value_kind:     global_buffer
      - .offset:         40
        .size:           8
        .value_kind:     by_value
      - .actual_access:  read_only
        .address_space:  global
        .offset:         48
        .size:           8
        .value_kind:     global_buffer
      - .actual_access:  read_only
        .address_space:  global
        .offset:         56
        .size:           8
        .value_kind:     global_buffer
      - .offset:         64
        .size:           4
        .value_kind:     by_value
      - .actual_access:  read_only
        .address_space:  global
        .offset:         72
        .size:           8
        .value_kind:     global_buffer
      - .actual_access:  read_only
        .address_space:  global
        .offset:         80
        .size:           8
        .value_kind:     global_buffer
      - .actual_access:  read_only
        .address_space:  global
        .offset:         88
        .size:           8
        .value_kind:     global_buffer
      - .actual_access:  write_only
        .address_space:  global
        .offset:         96
        .size:           8
        .value_kind:     global_buffer
    .group_segment_fixed_size: 0
    .kernarg_segment_align: 8
    .kernarg_segment_size: 104
    .language:       OpenCL C
    .language_version:
      - 2
      - 0
    .max_flat_workgroup_size: 256
    .name:           fft_rtc_back_len3072_factors_6_4_4_4_4_2_wgs_256_tpt_256_halfLds_sp_op_CI_CI_unitstride_sbrr_dirReg
    .private_segment_fixed_size: 0
    .sgpr_count:     29
    .sgpr_spill_count: 0
    .symbol:         fft_rtc_back_len3072_factors_6_4_4_4_4_2_wgs_256_tpt_256_halfLds_sp_op_CI_CI_unitstride_sbrr_dirReg.kd
    .uniform_work_group_size: 1
    .uses_dynamic_stack: false
    .vgpr_count:     61
    .vgpr_spill_count: 0
    .wavefront_size: 32
    .workgroup_processor_mode: 1
amdhsa.target:   amdgcn-amd-amdhsa--gfx1030
amdhsa.version:
  - 1
  - 2
...

	.end_amdgpu_metadata
